;; amdgpu-corpus repo=zjin-lcf/HeCBench kind=compiled arch=gfx906 opt=O3
	.amdgcn_target "amdgcn-amd-amdhsa--gfx906"
	.amdhsa_code_object_version 6
	.text
	.protected	_Z17finite_differencePfPKfS1_iiii ; -- Begin function _Z17finite_differencePfPKfS1_iiii
	.globl	_Z17finite_differencePfPKfS1_iiii
	.p2align	8
	.type	_Z17finite_differencePfPKfS1_iiii,@function
_Z17finite_differencePfPKfS1_iiii:      ; @_Z17finite_differencePfPKfS1_iiii
; %bb.0:
	s_load_dwordx4 s[8:11], s[4:5], 0x18
	s_waitcnt lgkmcnt(0)
	s_cmp_lt_i32 s10, 1
	s_cbranch_scc1 .LBB0_9
; %bb.1:
	s_load_dword s0, s[4:5], 0x34
	s_load_dwordx4 s[12:15], s[4:5], 0x0
	s_load_dwordx2 s[16:17], s[4:5], 0x10
	s_add_i32 s24, s8, 8
	s_lshl_b32 s2, s9, 3
	s_waitcnt lgkmcnt(0)
	s_lshr_b32 s4, s0, 16
	s_and_b32 s5, s0, 0xffff
	s_mul_i32 s0, s7, s4
	v_add_u32_e32 v28, s0, v1
	s_add_i32 s0, s9, 8
	v_mul_lo_u32 v2, v28, s24
	s_mul_i32 s18, s0, s24
	s_lshl_b32 s0, s24, 2
	s_mul_i32 s6, s6, s5
	s_add_i32 s0, s0, s11
	v_add_u32_e32 v12, s6, v0
	s_add_i32 s0, s0, 4
	v_add3_u32 v2, s0, v12, v2
	s_add_i32 s0, s18, s18
	v_add_u32_e32 v4, s0, v2
	v_ashrrev_i32_e32 v5, 31, v4
	v_lshlrev_b64 v[5:6], 2, v[4:5]
	v_mov_b32_e32 v3, s15
	v_add_co_u32_e32 v10, vcc, s14, v5
	v_addc_co_u32_e32 v11, vcc, v3, v6, vcc
	v_ashrrev_i32_e32 v3, 31, v2
	v_lshlrev_b64 v[2:3], 2, v[2:3]
	v_mov_b32_e32 v5, s15
	v_add_co_u32_e32 v14, vcc, s14, v2
	s_ashr_i32 s19, s18, 31
	v_add_u32_e32 v2, s0, v4
	v_addc_co_u32_e32 v15, vcc, v5, v3, vcc
	s_lshl_b64 s[20:21], s[18:19], 2
	v_ashrrev_i32_e32 v3, 31, v2
	v_mov_b32_e32 v5, s21
	v_add_co_u32_e32 v16, vcc, s20, v14
	v_lshlrev_b64 v[2:3], 2, v[2:3]
	v_addc_co_u32_e32 v17, vcc, v15, v5, vcc
	v_mov_b32_e32 v4, s15
	v_add_co_u32_e32 v18, vcc, s14, v2
	v_addc_co_u32_e32 v19, vcc, v4, v3, vcc
	v_add_co_u32_e32 v20, vcc, s20, v18
	v_addc_co_u32_e32 v21, vcc, v19, v5, vcc
	v_add_co_u32_e32 v22, vcc, s20, v20
	v_addc_co_u32_e32 v23, vcc, v21, v5, vcc
	v_add_co_u32_e32 v24, vcc, s20, v22
	v_addc_co_u32_e32 v25, vcc, v23, v5, vcc
	v_add_co_u32_e32 v26, vcc, s20, v10
	v_addc_co_u32_e32 v27, vcc, v11, v5, vcc
	global_load_dword v4, v[10:11], off
	global_load_dword v13, v[14:15], off
	;; [unrolled: 1-line block ×8, first 2 shown]
	v_cmp_gt_i32_e32 vcc, s9, v28
	v_cmp_gt_i32_e64 s[0:1], s8, v12
	v_mul_u32_u24_e32 v3, 0xa0, v1
	s_and_b64 s[22:23], vcc, s[0:1]
	v_lshl_add_u32 v10, v0, 2, v3
	s_mul_i32 s0, s4, 0xa0
	v_add_u32_e32 v11, s0, v10
	v_cmp_gt_u32_e64 s[0:1], 4, v0
	v_add_u32_e32 v3, s11, v0
	v_add3_u32 v0, v28, s2, 64
	s_lshl_b32 s8, s8, 2
	s_add_i32 s19, s8, s6
	v_mov_b32_e32 v18, s15
	v_cmp_gt_u32_e32 vcc, 4, v1
	v_lshl_add_u32 v12, s5, 2, v10
	s_mov_b32 s11, 0
	s_waitcnt vmcnt(7)
	v_mad_u64_u32 v[14:15], s[2:3], v0, s24, v[3:4]
	s_add_i32 s3, s7, 1
	s_lshl_b32 s2, s9, 2
	s_mul_i32 s3, s3, s4
	v_add3_u32 v0, v28, s2, 32
	s_add_i32 s2, s2, s3
	v_add3_u32 v14, s19, v14, 36
	v_mul_lo_u32 v19, v0, s24
	v_add3_u32 v0, s2, v1, 32
	v_ashrrev_i32_e32 v15, 31, v14
	v_mad_u64_u32 v[16:17], s[2:3], v0, s24, v[3:4]
	v_lshlrev_b64 v[14:15], 2, v[14:15]
	v_add3_u32 v3, v3, v19, s6
	v_add_co_u32_e64 v0, s[2:3], s14, v14
	v_addc_co_u32_e64 v1, s[2:3], v18, v15, s[2:3]
	v_add3_u32 v14, v3, s8, 36
	v_add3_u32 v15, s19, v16, 36
	v_add_u32_e32 v16, 4, v3
	s_lshl_b32 s19, s5, 2
	s_branch .LBB0_3
.LBB0_2:                                ;   in Loop: Header=BB0_3 Depth=1
	s_or_b64 exec, exec, s[8:9]
	s_add_i32 s10, s10, -1
	v_mov_b32_e32 v2, s21
	v_add_co_u32_e64 v0, s[2:3], s20, v0
	s_add_i32 s11, s11, s18
	v_addc_co_u32_e64 v1, s[2:3], v1, v2, s[2:3]
	s_cmp_eq_u32 s10, 0
	v_mov_b32_e32 v2, v6
	v_mov_b32_e32 v6, v7
	;; [unrolled: 1-line block ×6, first 2 shown]
	s_cbranch_scc1 .LBB0_9
.LBB0_3:                                ; =>This Inner Loop Header: Depth=1
	global_load_dword v18, v[0:1], off
	s_waitcnt vmcnt(6)
	v_mov_b32_e32 v17, v5
	v_mov_b32_e32 v5, v4
	s_waitcnt vmcnt(1)
	v_mov_b32_e32 v4, v2
	s_waitcnt vmcnt(0)
	s_barrier
	s_and_saveexec_b64 s[4:5], vcc
	s_cbranch_execz .LBB0_5
; %bb.4:                                ;   in Loop: Header=BB0_3 Depth=1
	v_add_u32_e32 v2, s11, v16
	v_ashrrev_i32_e32 v3, 31, v2
	v_lshlrev_b64 v[2:3], 2, v[2:3]
	v_add_u32_e32 v19, s11, v15
	v_ashrrev_i32_e32 v20, 31, v19
	v_mov_b32_e32 v21, s15
	v_add_co_u32_e64 v2, s[2:3], s14, v2
	v_lshlrev_b64 v[19:20], 2, v[19:20]
	v_addc_co_u32_e64 v3, s[2:3], v21, v3, s[2:3]
	v_add_co_u32_e64 v19, s[2:3], s14, v19
	v_addc_co_u32_e64 v20, s[2:3], v21, v20, s[2:3]
	global_load_dword v21, v[2:3], off
	global_load_dword v22, v[19:20], off
	s_waitcnt vmcnt(1)
	ds_write_b32 v10, v21 offset:16
	s_waitcnt vmcnt(0)
	ds_write_b32 v11, v22 offset:656
.LBB0_5:                                ;   in Loop: Header=BB0_3 Depth=1
	s_or_b64 exec, exec, s[4:5]
	v_add_u32_e32 v2, s11, v14
	s_and_saveexec_b64 s[4:5], s[0:1]
	s_cbranch_execz .LBB0_7
; %bb.6:                                ;   in Loop: Header=BB0_3 Depth=1
	v_ashrrev_i32_e32 v3, 31, v2
	v_lshlrev_b64 v[19:20], 2, v[2:3]
	v_mov_b32_e32 v3, s15
	v_add_co_u32_e64 v19, s[2:3], s14, v19
	v_addc_co_u32_e64 v20, s[2:3], v3, v20, s[2:3]
	v_add_co_u32_e64 v21, s[2:3], s19, v19
	v_addc_co_u32_e64 v22, s[2:3], 0, v20, s[2:3]
	global_load_dword v3, v[19:20], off offset:-16
	global_load_dword v23, v[21:22], off
	s_waitcnt vmcnt(1)
	ds_write_b32 v10, v3 offset:640
	s_waitcnt vmcnt(0)
	ds_write_b32 v12, v23 offset:656
.LBB0_7:                                ;   in Loop: Header=BB0_3 Depth=1
	s_or_b64 exec, exec, s[4:5]
	ds_write_b32 v10, v6 offset:656
	s_waitcnt lgkmcnt(0)
	s_barrier
	s_and_saveexec_b64 s[8:9], s[22:23]
	s_cbranch_execz .LBB0_2
; %bb.8:                                ;   in Loop: Header=BB0_3 Depth=1
	ds_read2_b32 v[19:20], v10 offset0:84 offset1:124
	s_load_dwordx4 s[4:7], s[16:17], 0x0
	s_load_dword s2, s[16:17], 0x10
	ds_read2_b32 v[21:22], v10 offset0:204 offset1:244
	ds_read2_b32 v[23:24], v10 offset0:162 offset1:163
	;; [unrolled: 1-line block ×3, first 2 shown]
	v_add_f32_e32 v3, v7, v4
	s_waitcnt lgkmcnt(0)
	v_add_f32_e32 v3, v3, v20
	v_add_f32_e32 v3, v3, v21
	;; [unrolled: 1-line block ×4, first 2 shown]
	v_mul_f32_e32 v29, s5, v3
	v_add_f32_e32 v3, v8, v5
	v_add_f32_e32 v3, v3, v19
	;; [unrolled: 1-line block ×3, first 2 shown]
	ds_read2_b32 v[20:21], v10 offset0:167 offset1:168
	ds_read2_b32 v[27:28], v10 offset0:160 offset1:161
	v_add_f32_e32 v3, v3, v23
	ds_read2_b32 v[22:23], v10 offset0:4 offset1:44
	v_add_u32_e32 v19, 0x400, v10
	ds_read2_b32 v[24:25], v19 offset0:28 offset1:68
	v_fmac_f32_e32 v29, s4, v6
	v_add_f32_e32 v3, v3, v26
	v_fmac_f32_e32 v29, s6, v3
	v_add_f32_e32 v3, v9, v17
	s_waitcnt lgkmcnt(1)
	v_add_f32_e32 v3, v3, v23
	s_waitcnt lgkmcnt(0)
	v_add_f32_e32 v3, v3, v24
	v_add_f32_e32 v3, v3, v28
	;; [unrolled: 1-line block ×3, first 2 shown]
	v_fmac_f32_e32 v29, s7, v3
	v_add_f32_e32 v3, v18, v13
	v_add_f32_e32 v3, v3, v22
	;; [unrolled: 1-line block ×5, first 2 shown]
	v_fmac_f32_e32 v29, s2, v3
	v_ashrrev_i32_e32 v3, 31, v2
	v_lshlrev_b64 v[2:3], 2, v[2:3]
	v_mov_b32_e32 v13, s13
	v_add_co_u32_e64 v2, s[2:3], s12, v2
	v_addc_co_u32_e64 v3, s[2:3], v13, v3, s[2:3]
	global_store_dword v[2:3], v29, off
	s_branch .LBB0_2
.LBB0_9:
	s_endpgm
	.section	.rodata,"a",@progbits
	.p2align	6, 0x0
	.amdhsa_kernel _Z17finite_differencePfPKfS1_iiii
		.amdhsa_group_segment_fixed_size 3840
		.amdhsa_private_segment_fixed_size 0
		.amdhsa_kernarg_size 296
		.amdhsa_user_sgpr_count 6
		.amdhsa_user_sgpr_private_segment_buffer 1
		.amdhsa_user_sgpr_dispatch_ptr 0
		.amdhsa_user_sgpr_queue_ptr 0
		.amdhsa_user_sgpr_kernarg_segment_ptr 1
		.amdhsa_user_sgpr_dispatch_id 0
		.amdhsa_user_sgpr_flat_scratch_init 0
		.amdhsa_user_sgpr_private_segment_size 0
		.amdhsa_uses_dynamic_stack 0
		.amdhsa_system_sgpr_private_segment_wavefront_offset 0
		.amdhsa_system_sgpr_workgroup_id_x 1
		.amdhsa_system_sgpr_workgroup_id_y 1
		.amdhsa_system_sgpr_workgroup_id_z 0
		.amdhsa_system_sgpr_workgroup_info 0
		.amdhsa_system_vgpr_workitem_id 1
		.amdhsa_next_free_vgpr 30
		.amdhsa_next_free_sgpr 61
		.amdhsa_reserve_vcc 1
		.amdhsa_reserve_flat_scratch 0
		.amdhsa_float_round_mode_32 0
		.amdhsa_float_round_mode_16_64 0
		.amdhsa_float_denorm_mode_32 3
		.amdhsa_float_denorm_mode_16_64 3
		.amdhsa_dx10_clamp 1
		.amdhsa_ieee_mode 1
		.amdhsa_fp16_overflow 0
		.amdhsa_exception_fp_ieee_invalid_op 0
		.amdhsa_exception_fp_denorm_src 0
		.amdhsa_exception_fp_ieee_div_zero 0
		.amdhsa_exception_fp_ieee_overflow 0
		.amdhsa_exception_fp_ieee_underflow 0
		.amdhsa_exception_fp_ieee_inexact 0
		.amdhsa_exception_int_div_zero 0
	.end_amdhsa_kernel
	.text
.Lfunc_end0:
	.size	_Z17finite_differencePfPKfS1_iiii, .Lfunc_end0-_Z17finite_differencePfPKfS1_iiii
                                        ; -- End function
	.set _Z17finite_differencePfPKfS1_iiii.num_vgpr, 30
	.set _Z17finite_differencePfPKfS1_iiii.num_agpr, 0
	.set _Z17finite_differencePfPKfS1_iiii.numbered_sgpr, 25
	.set _Z17finite_differencePfPKfS1_iiii.num_named_barrier, 0
	.set _Z17finite_differencePfPKfS1_iiii.private_seg_size, 0
	.set _Z17finite_differencePfPKfS1_iiii.uses_vcc, 1
	.set _Z17finite_differencePfPKfS1_iiii.uses_flat_scratch, 0
	.set _Z17finite_differencePfPKfS1_iiii.has_dyn_sized_stack, 0
	.set _Z17finite_differencePfPKfS1_iiii.has_recursion, 0
	.set _Z17finite_differencePfPKfS1_iiii.has_indirect_call, 0
	.section	.AMDGPU.csdata,"",@progbits
; Kernel info:
; codeLenInByte = 1140
; TotalNumSgprs: 29
; NumVgprs: 30
; ScratchSize: 0
; MemoryBound: 0
; FloatMode: 240
; IeeeMode: 1
; LDSByteSize: 3840 bytes/workgroup (compile time only)
; SGPRBlocks: 8
; VGPRBlocks: 7
; NumSGPRsForWavesPerEU: 65
; NumVGPRsForWavesPerEU: 30
; Occupancy: 8
; WaveLimiterHint : 0
; COMPUTE_PGM_RSRC2:SCRATCH_EN: 0
; COMPUTE_PGM_RSRC2:USER_SGPR: 6
; COMPUTE_PGM_RSRC2:TRAP_HANDLER: 0
; COMPUTE_PGM_RSRC2:TGID_X_EN: 1
; COMPUTE_PGM_RSRC2:TGID_Y_EN: 1
; COMPUTE_PGM_RSRC2:TGID_Z_EN: 0
; COMPUTE_PGM_RSRC2:TIDIG_COMP_CNT: 1
	.section	.AMDGPU.gpr_maximums,"",@progbits
	.set amdgpu.max_num_vgpr, 0
	.set amdgpu.max_num_agpr, 0
	.set amdgpu.max_num_sgpr, 0
	.section	.AMDGPU.csdata,"",@progbits
	.type	__hip_cuid_d4d5c5a08e9fca8c,@object ; @__hip_cuid_d4d5c5a08e9fca8c
	.section	.bss,"aw",@nobits
	.globl	__hip_cuid_d4d5c5a08e9fca8c
__hip_cuid_d4d5c5a08e9fca8c:
	.byte	0                               ; 0x0
	.size	__hip_cuid_d4d5c5a08e9fca8c, 1

	.ident	"AMD clang version 22.0.0git (https://github.com/RadeonOpenCompute/llvm-project roc-7.2.4 26084 f58b06dce1f9c15707c5f808fd002e18c2accf7e)"
	.section	".note.GNU-stack","",@progbits
	.addrsig
	.addrsig_sym __hip_cuid_d4d5c5a08e9fca8c
	.amdgpu_metadata
---
amdhsa.kernels:
  - .args:
      - .actual_access:  write_only
        .address_space:  global
        .offset:         0
        .size:           8
        .value_kind:     global_buffer
      - .actual_access:  read_only
        .address_space:  global
        .offset:         8
        .size:           8
        .value_kind:     global_buffer
      - .actual_access:  read_only
        .address_space:  global
        .offset:         16
        .size:           8
        .value_kind:     global_buffer
      - .offset:         24
        .size:           4
        .value_kind:     by_value
      - .offset:         28
        .size:           4
        .value_kind:     by_value
      - .offset:         32
        .size:           4
        .value_kind:     by_value
      - .offset:         36
        .size:           4
        .value_kind:     by_value
      - .offset:         40
        .size:           4
        .value_kind:     hidden_block_count_x
      - .offset:         44
        .size:           4
        .value_kind:     hidden_block_count_y
      - .offset:         48
        .size:           4
        .value_kind:     hidden_block_count_z
      - .offset:         52
        .size:           2
        .value_kind:     hidden_group_size_x
      - .offset:         54
        .size:           2
        .value_kind:     hidden_group_size_y
      - .offset:         56
        .size:           2
        .value_kind:     hidden_group_size_z
      - .offset:         58
        .size:           2
        .value_kind:     hidden_remainder_x
      - .offset:         60
        .size:           2
        .value_kind:     hidden_remainder_y
      - .offset:         62
        .size:           2
        .value_kind:     hidden_remainder_z
      - .offset:         80
        .size:           8
        .value_kind:     hidden_global_offset_x
      - .offset:         88
        .size:           8
        .value_kind:     hidden_global_offset_y
      - .offset:         96
        .size:           8
        .value_kind:     hidden_global_offset_z
      - .offset:         104
        .size:           2
        .value_kind:     hidden_grid_dims
    .group_segment_fixed_size: 3840
    .kernarg_segment_align: 8
    .kernarg_segment_size: 296
    .language:       OpenCL C
    .language_version:
      - 2
      - 0
    .max_flat_workgroup_size: 1024
    .name:           _Z17finite_differencePfPKfS1_iiii
    .private_segment_fixed_size: 0
    .sgpr_count:     29
    .sgpr_spill_count: 0
    .symbol:         _Z17finite_differencePfPKfS1_iiii.kd
    .uniform_work_group_size: 1
    .uses_dynamic_stack: false
    .vgpr_count:     30
    .vgpr_spill_count: 0
    .wavefront_size: 64
amdhsa.target:   amdgcn-amd-amdhsa--gfx906
amdhsa.version:
  - 1
  - 2
...

	.end_amdgpu_metadata
